;; amdgpu-corpus repo=ROCm/rocFFT kind=compiled arch=gfx906 opt=O3
	.text
	.amdgcn_target "amdgcn-amd-amdhsa--gfx906"
	.amdhsa_code_object_version 6
	.protected	fft_rtc_back_len84_factors_7_2_6_wgs_336_tpt_14_dp_ip_CI_sbcc ; -- Begin function fft_rtc_back_len84_factors_7_2_6_wgs_336_tpt_14_dp_ip_CI_sbcc
	.globl	fft_rtc_back_len84_factors_7_2_6_wgs_336_tpt_14_dp_ip_CI_sbcc
	.p2align	8
	.type	fft_rtc_back_len84_factors_7_2_6_wgs_336_tpt_14_dp_ip_CI_sbcc,@function
fft_rtc_back_len84_factors_7_2_6_wgs_336_tpt_14_dp_ip_CI_sbcc: ; @fft_rtc_back_len84_factors_7_2_6_wgs_336_tpt_14_dp_ip_CI_sbcc
; %bb.0:
	s_load_dwordx4 s[0:3], s[4:5], 0x18
	s_mov_b32 s7, 0
	s_mov_b64 s[22:23], 0
	s_waitcnt lgkmcnt(0)
	s_load_dwordx2 s[16:17], s[0:1], 0x8
	s_waitcnt lgkmcnt(0)
	s_add_u32 s8, s16, -1
	s_addc_u32 s9, s17, -1
	s_add_u32 s10, 0, 0xaaaa0000
	s_addc_u32 s11, 0, 42
	s_mul_hi_u32 s13, s10, 0xffffffe8
	s_add_i32 s11, s11, 0xaaaaa80
	s_sub_i32 s13, s13, s10
	s_mul_i32 s18, s11, 0xffffffe8
	s_mul_i32 s12, s10, 0xffffffe8
	s_add_i32 s13, s13, s18
	s_mul_hi_u32 s14, s11, s12
	s_mul_i32 s15, s11, s12
	s_mul_i32 s19, s10, s13
	s_mul_hi_u32 s12, s10, s12
	s_mul_hi_u32 s18, s10, s13
	s_add_u32 s12, s12, s19
	s_addc_u32 s18, 0, s18
	s_add_u32 s12, s12, s15
	s_mul_hi_u32 s19, s11, s13
	s_addc_u32 s12, s18, s14
	s_addc_u32 s14, s19, 0
	s_mul_i32 s13, s11, s13
	s_add_u32 s12, s12, s13
	v_mov_b32_e32 v1, s12
	s_addc_u32 s13, 0, s14
	v_add_co_u32_e32 v1, vcc, s10, v1
	s_cmp_lg_u64 vcc, 0
	s_addc_u32 s10, s11, s13
	v_readfirstlane_b32 s13, v1
	s_mul_i32 s12, s8, s10
	s_mul_hi_u32 s14, s8, s13
	s_mul_hi_u32 s11, s8, s10
	s_add_u32 s12, s14, s12
	s_addc_u32 s11, 0, s11
	s_mul_hi_u32 s15, s9, s13
	s_mul_i32 s13, s9, s13
	s_add_u32 s12, s12, s13
	s_mul_hi_u32 s14, s9, s10
	s_addc_u32 s11, s11, s15
	s_addc_u32 s12, s14, 0
	s_mul_i32 s10, s9, s10
	s_add_u32 s10, s11, s10
	s_addc_u32 s11, 0, s12
	s_add_u32 s12, s10, 1
	s_addc_u32 s13, s11, 0
	s_add_u32 s14, s10, 2
	s_mul_i32 s18, s11, 24
	s_mul_hi_u32 s19, s10, 24
	s_addc_u32 s15, s11, 0
	s_add_i32 s19, s19, s18
	s_mul_i32 s18, s10, 24
	v_mov_b32_e32 v1, s18
	v_sub_co_u32_e32 v1, vcc, s8, v1
	s_cmp_lg_u64 vcc, 0
	s_subb_u32 s8, s9, s19
	v_subrev_co_u32_e32 v2, vcc, 24, v1
	s_cmp_lg_u64 vcc, 0
	s_subb_u32 s9, s8, 0
	v_readfirstlane_b32 s18, v2
	s_cmp_gt_u32 s18, 23
	s_cselect_b32 s18, -1, 0
	s_cmp_eq_u32 s9, 0
	s_cselect_b32 s9, s18, -1
	s_cmp_lg_u32 s9, 0
	s_cselect_b32 s9, s14, s12
	s_cselect_b32 s12, s15, s13
	v_readfirstlane_b32 s13, v1
	s_cmp_gt_u32 s13, 23
	s_cselect_b32 s13, -1, 0
	s_cmp_eq_u32 s8, 0
	s_cselect_b32 s8, s13, -1
	s_cmp_lg_u32 s8, 0
	s_cselect_b32 s9, s9, s10
	s_cselect_b32 s8, s12, s11
	s_add_u32 s18, s9, 1
	s_addc_u32 s19, s8, 0
	v_mov_b32_e32 v1, s18
	v_mov_b32_e32 v2, s19
	v_cmp_lt_u64_e32 vcc, s[6:7], v[1:2]
	s_cbranch_vccnz .LBB0_2
; %bb.1:
	v_cvt_f32_u32_e32 v1, s18
	s_sub_i32 s8, 0, s18
	s_mov_b32 s23, s7
	v_rcp_iflag_f32_e32 v1, v1
	v_mul_f32_e32 v1, 0x4f7ffffe, v1
	v_cvt_u32_f32_e32 v1, v1
	v_readfirstlane_b32 s9, v1
	s_mul_i32 s8, s8, s9
	s_mul_hi_u32 s8, s9, s8
	s_add_i32 s9, s9, s8
	s_mul_hi_u32 s8, s6, s9
	s_mul_i32 s10, s8, s18
	s_sub_i32 s10, s6, s10
	s_add_i32 s9, s8, 1
	s_sub_i32 s11, s10, s18
	s_cmp_ge_u32 s10, s18
	s_cselect_b32 s8, s9, s8
	s_cselect_b32 s10, s11, s10
	s_add_i32 s9, s8, 1
	s_cmp_ge_u32 s10, s18
	s_cselect_b32 s22, s9, s8
.LBB0_2:
	s_load_dwordx2 s[14:15], s[4:5], 0x0
	s_load_dwordx4 s[8:11], s[2:3], 0x0
	s_load_dwordx2 s[12:13], s[4:5], 0x58
	s_load_dwordx2 s[20:21], s[4:5], 0x10
	s_mul_i32 s4, s22, s19
	s_mul_hi_u32 s5, s22, s18
	s_add_i32 s5, s5, s4
	s_mul_i32 s4, s22, s18
	s_sub_u32 s36, s6, s4
	s_subb_u32 s4, 0, s5
	s_mul_i32 s4, s4, 24
	s_mul_hi_u32 s33, s36, 24
	s_add_i32 s33, s33, s4
	s_mul_i32 s36, s36, 24
	s_waitcnt lgkmcnt(0)
	s_mul_i32 s4, s10, s33
	s_mul_hi_u32 s5, s10, s36
	s_add_i32 s4, s5, s4
	s_mul_i32 s5, s11, s36
	s_add_i32 s37, s4, s5
	v_cmp_lt_u64_e64 s[4:5], s[20:21], 3
	s_mul_i32 s38, s10, s36
	s_and_b64 vcc, exec, s[4:5]
	s_cbranch_vccnz .LBB0_12
; %bb.3:
	s_add_u32 s4, s2, 16
	s_addc_u32 s5, s3, 0
	s_add_u32 s24, s0, 16
	v_mov_b32_e32 v1, s20
	s_addc_u32 s25, s1, 0
	s_mov_b64 s[26:27], 2
	s_mov_b32 s28, 0
	v_mov_b32_e32 v2, s21
.LBB0_4:                                ; =>This Inner Loop Header: Depth=1
	s_load_dwordx2 s[30:31], s[24:25], 0x0
	s_waitcnt lgkmcnt(0)
	s_or_b64 s[0:1], s[22:23], s[30:31]
	s_mov_b32 s29, s1
	s_cmp_lg_u64 s[28:29], 0
	s_cbranch_scc0 .LBB0_9
; %bb.5:                                ;   in Loop: Header=BB0_4 Depth=1
	v_cvt_f32_u32_e32 v3, s30
	v_cvt_f32_u32_e32 v4, s31
	s_sub_u32 s0, 0, s30
	s_subb_u32 s1, 0, s31
	v_mac_f32_e32 v3, 0x4f800000, v4
	v_rcp_f32_e32 v3, v3
	v_mul_f32_e32 v3, 0x5f7ffffc, v3
	v_mul_f32_e32 v4, 0x2f800000, v3
	v_trunc_f32_e32 v4, v4
	v_mac_f32_e32 v3, 0xcf800000, v4
	v_cvt_u32_f32_e32 v4, v4
	v_cvt_u32_f32_e32 v3, v3
	v_readfirstlane_b32 s29, v4
	v_readfirstlane_b32 s34, v3
	s_mul_i32 s35, s0, s29
	s_mul_hi_u32 s40, s0, s34
	s_mul_i32 s39, s1, s34
	s_add_i32 s35, s40, s35
	s_mul_i32 s41, s0, s34
	s_add_i32 s35, s35, s39
	s_mul_hi_u32 s39, s34, s35
	s_mul_i32 s40, s34, s35
	s_mul_hi_u32 s34, s34, s41
	s_add_u32 s34, s34, s40
	s_addc_u32 s39, 0, s39
	s_mul_hi_u32 s42, s29, s41
	s_mul_i32 s41, s29, s41
	s_add_u32 s34, s34, s41
	s_mul_hi_u32 s40, s29, s35
	s_addc_u32 s34, s39, s42
	s_addc_u32 s39, s40, 0
	s_mul_i32 s35, s29, s35
	s_add_u32 s34, s34, s35
	s_addc_u32 s35, 0, s39
	v_add_co_u32_e32 v3, vcc, s34, v3
	s_cmp_lg_u64 vcc, 0
	s_addc_u32 s29, s29, s35
	v_readfirstlane_b32 s35, v3
	s_mul_i32 s34, s0, s29
	s_mul_hi_u32 s39, s0, s35
	s_add_i32 s34, s39, s34
	s_mul_i32 s1, s1, s35
	s_add_i32 s34, s34, s1
	s_mul_i32 s0, s0, s35
	s_mul_hi_u32 s39, s29, s0
	s_mul_i32 s40, s29, s0
	s_mul_i32 s42, s35, s34
	s_mul_hi_u32 s0, s35, s0
	s_mul_hi_u32 s41, s35, s34
	s_add_u32 s0, s0, s42
	s_addc_u32 s35, 0, s41
	s_add_u32 s0, s0, s40
	s_mul_hi_u32 s1, s29, s34
	s_addc_u32 s0, s35, s39
	s_addc_u32 s1, s1, 0
	s_mul_i32 s34, s29, s34
	s_add_u32 s0, s0, s34
	s_addc_u32 s1, 0, s1
	v_add_co_u32_e32 v3, vcc, s0, v3
	s_cmp_lg_u64 vcc, 0
	s_addc_u32 s0, s29, s1
	v_readfirstlane_b32 s34, v3
	s_mul_i32 s29, s22, s0
	s_mul_hi_u32 s35, s22, s34
	s_mul_hi_u32 s1, s22, s0
	s_add_u32 s29, s35, s29
	s_addc_u32 s1, 0, s1
	s_mul_hi_u32 s39, s23, s34
	s_mul_i32 s34, s23, s34
	s_add_u32 s29, s29, s34
	s_mul_hi_u32 s35, s23, s0
	s_addc_u32 s1, s1, s39
	s_addc_u32 s29, s35, 0
	s_mul_i32 s0, s23, s0
	s_add_u32 s34, s1, s0
	s_addc_u32 s29, 0, s29
	s_mul_i32 s0, s30, s29
	s_mul_hi_u32 s1, s30, s34
	s_add_i32 s0, s1, s0
	s_mul_i32 s1, s31, s34
	s_add_i32 s35, s0, s1
	s_mul_i32 s1, s30, s34
	v_mov_b32_e32 v3, s1
	s_sub_i32 s0, s23, s35
	v_sub_co_u32_e32 v3, vcc, s22, v3
	s_cmp_lg_u64 vcc, 0
	s_subb_u32 s39, s0, s31
	v_subrev_co_u32_e64 v4, s[0:1], s30, v3
	s_cmp_lg_u64 s[0:1], 0
	s_subb_u32 s0, s39, 0
	s_cmp_ge_u32 s0, s31
	v_readfirstlane_b32 s39, v4
	s_cselect_b32 s1, -1, 0
	s_cmp_ge_u32 s39, s30
	s_cselect_b32 s39, -1, 0
	s_cmp_eq_u32 s0, s31
	s_cselect_b32 s0, s39, s1
	s_add_u32 s1, s34, 1
	s_addc_u32 s39, s29, 0
	s_add_u32 s40, s34, 2
	s_addc_u32 s41, s29, 0
	s_cmp_lg_u32 s0, 0
	s_cselect_b32 s0, s40, s1
	s_cselect_b32 s1, s41, s39
	s_cmp_lg_u64 vcc, 0
	s_subb_u32 s35, s23, s35
	s_cmp_ge_u32 s35, s31
	v_readfirstlane_b32 s40, v3
	s_cselect_b32 s39, -1, 0
	s_cmp_ge_u32 s40, s30
	s_cselect_b32 s40, -1, 0
	s_cmp_eq_u32 s35, s31
	s_cselect_b32 s35, s40, s39
	s_cmp_lg_u32 s35, 0
	s_cselect_b32 s1, s1, s29
	s_cselect_b32 s0, s0, s34
	s_cbranch_execnz .LBB0_7
.LBB0_6:                                ;   in Loop: Header=BB0_4 Depth=1
	v_cvt_f32_u32_e32 v3, s30
	s_sub_i32 s0, 0, s30
	v_rcp_iflag_f32_e32 v3, v3
	v_mul_f32_e32 v3, 0x4f7ffffe, v3
	v_cvt_u32_f32_e32 v3, v3
	v_readfirstlane_b32 s1, v3
	s_mul_i32 s0, s0, s1
	s_mul_hi_u32 s0, s1, s0
	s_add_i32 s1, s1, s0
	s_mul_hi_u32 s0, s22, s1
	s_mul_i32 s29, s0, s30
	s_sub_i32 s29, s22, s29
	s_add_i32 s1, s0, 1
	s_sub_i32 s34, s29, s30
	s_cmp_ge_u32 s29, s30
	s_cselect_b32 s0, s1, s0
	s_cselect_b32 s29, s34, s29
	s_add_i32 s1, s0, 1
	s_cmp_ge_u32 s29, s30
	s_cselect_b32 s0, s1, s0
	s_mov_b32 s1, s28
.LBB0_7:                                ;   in Loop: Header=BB0_4 Depth=1
	s_mul_i32 s19, s30, s19
	s_mul_hi_u32 s29, s30, s18
	s_add_i32 s19, s29, s19
	s_mul_i32 s29, s31, s18
	s_add_i32 s19, s19, s29
	s_mul_i32 s29, s0, s31
	s_mul_hi_u32 s31, s0, s30
	s_load_dwordx2 s[34:35], s[4:5], 0x0
	s_add_i32 s29, s31, s29
	s_mul_i32 s31, s1, s30
	s_mul_i32 s18, s30, s18
	s_add_i32 s29, s29, s31
	s_mul_i32 s30, s0, s30
	s_sub_u32 s22, s22, s30
	s_subb_u32 s23, s23, s29
	s_waitcnt lgkmcnt(0)
	s_mul_i32 s23, s34, s23
	s_mul_hi_u32 s29, s34, s22
	s_add_i32 s23, s29, s23
	s_mul_i32 s29, s35, s22
	s_add_i32 s23, s23, s29
	s_mul_i32 s22, s34, s22
	s_add_u32 s38, s22, s38
	s_addc_u32 s37, s23, s37
	s_add_u32 s26, s26, 1
	s_addc_u32 s27, s27, 0
	;; [unrolled: 2-line block ×3, first 2 shown]
	v_cmp_ge_u64_e32 vcc, s[26:27], v[1:2]
	s_add_u32 s24, s24, 8
	s_addc_u32 s25, s25, 0
	s_cbranch_vccnz .LBB0_10
; %bb.8:                                ;   in Loop: Header=BB0_4 Depth=1
	s_mov_b64 s[22:23], s[0:1]
	s_branch .LBB0_4
.LBB0_9:                                ;   in Loop: Header=BB0_4 Depth=1
                                        ; implicit-def: $sgpr0_sgpr1
	s_branch .LBB0_6
.LBB0_10:
	v_mov_b32_e32 v1, s18
	v_mov_b32_e32 v2, s19
	v_cmp_lt_u64_e32 vcc, s[6:7], v[1:2]
	s_mov_b64 s[22:23], 0
	s_cbranch_vccnz .LBB0_12
; %bb.11:
	v_cvt_f32_u32_e32 v1, s18
	s_sub_i32 s0, 0, s18
	v_rcp_iflag_f32_e32 v1, v1
	v_mul_f32_e32 v1, 0x4f7ffffe, v1
	v_cvt_u32_f32_e32 v1, v1
	v_readfirstlane_b32 s1, v1
	s_mul_i32 s0, s0, s1
	s_mul_hi_u32 s0, s1, s0
	s_add_i32 s1, s1, s0
	s_mul_hi_u32 s0, s6, s1
	s_mul_i32 s4, s0, s18
	s_sub_i32 s4, s6, s4
	s_add_i32 s1, s0, 1
	s_sub_i32 s5, s4, s18
	s_cmp_ge_u32 s4, s18
	s_cselect_b32 s0, s1, s0
	s_cselect_b32 s4, s5, s4
	s_add_i32 s1, s0, 1
	s_cmp_ge_u32 s4, s18
	s_cselect_b32 s22, s1, s0
.LBB0_12:
	s_lshl_b64 s[0:1], s[20:21], 3
	s_add_u32 s0, s2, s0
	s_addc_u32 s1, s3, s1
	s_load_dwordx2 s[0:1], s[0:1], 0x0
	v_mov_b32_e32 v1, s16
	v_mul_u32_u24_e32 v3, 0xaab, v0
	v_mov_b32_e32 v2, s17
	v_lshrrev_b32_e32 v28, 16, v3
	s_waitcnt lgkmcnt(0)
	s_mul_i32 s1, s1, s22
	s_mul_hi_u32 s2, s0, s22
	s_mul_i32 s0, s0, s22
	s_add_i32 s1, s2, s1
	s_add_u32 s2, s0, s38
	s_addc_u32 s3, s1, s37
	s_add_u32 s0, s36, 24
	s_addc_u32 s1, s33, 0
	v_cmp_le_u64_e32 vcc, s[0:1], v[1:2]
	v_mul_lo_u16_e32 v1, 24, v28
	v_sub_u16_e32 v33, v0, v1
	v_mov_b32_e32 v2, s33
	v_add_co_u32_e64 v1, s[0:1], s36, v33
	v_addc_co_u32_e64 v2, s[0:1], 0, v2, s[0:1]
	v_cmp_gt_u64_e64 s[0:1], s[16:17], v[1:2]
	v_lshlrev_b32_e32 v34, 4, v28
	s_or_b64 s[0:1], vcc, s[0:1]
	v_add_u32_e32 v32, 14, v28
	v_add_u32_e32 v31, 28, v28
	;; [unrolled: 1-line block ×4, first 2 shown]
	s_and_saveexec_b64 s[4:5], s[0:1]
	s_cbranch_execz .LBB0_14
; %bb.13:
	v_mad_u64_u32 v[1:2], s[6:7], s10, v33, 0
	v_mad_u64_u32 v[3:4], s[6:7], s8, v28, 0
	;; [unrolled: 1-line block ×3, first 2 shown]
	v_mov_b32_e32 v2, v4
	v_mad_u64_u32 v[6:7], s[6:7], s9, v28, v[2:3]
	s_lshl_b64 s[6:7], s[2:3], 4
	s_add_u32 s16, s12, s6
	s_addc_u32 s6, s13, s7
	v_mov_b32_e32 v2, v5
	v_mov_b32_e32 v4, v6
	;; [unrolled: 1-line block ×3, first 2 shown]
	v_mad_u64_u32 v[5:6], s[6:7], s8, v32, 0
	v_lshlrev_b64 v[1:2], 4, v[1:2]
	v_add_co_u32_e32 v27, vcc, s16, v1
	v_addc_co_u32_e32 v41, vcc, v7, v2, vcc
	v_lshlrev_b64 v[1:2], 4, v[3:4]
	v_mov_b32_e32 v3, v6
	v_mad_u64_u32 v[3:4], s[6:7], s9, v32, v[3:4]
	v_mad_u64_u32 v[7:8], s[6:7], s8, v31, 0
	v_mov_b32_e32 v6, v3
	v_add_co_u32_e32 v21, vcc, v27, v1
	v_mov_b32_e32 v3, v8
	v_mad_u64_u32 v[3:4], s[6:7], s9, v31, v[3:4]
	v_addc_co_u32_e32 v22, vcc, v41, v2, vcc
	v_lshlrev_b64 v[1:2], 4, v[5:6]
	v_mad_u64_u32 v[4:5], s[6:7], s8, v30, 0
	v_mov_b32_e32 v8, v3
	v_add_co_u32_e32 v23, vcc, v27, v1
	v_mov_b32_e32 v3, v5
	v_mad_u64_u32 v[5:6], s[6:7], s9, v30, v[3:4]
	v_addc_co_u32_e32 v24, vcc, v41, v2, vcc
	v_lshlrev_b64 v[1:2], 4, v[7:8]
	v_mad_u64_u32 v[6:7], s[6:7], s8, v29, 0
	v_add_co_u32_e32 v25, vcc, v27, v1
	v_mov_b32_e32 v3, v7
	v_addc_co_u32_e32 v26, vcc, v41, v2, vcc
	v_lshlrev_b64 v[1:2], 4, v[4:5]
	v_mad_u64_u32 v[3:4], s[6:7], s9, v29, v[3:4]
	v_add_u32_e32 v8, 0x46, v28
	v_mad_u64_u32 v[4:5], s[6:7], s8, v8, 0
	v_add_co_u32_e32 v35, vcc, v27, v1
	v_mov_b32_e32 v7, v3
	v_mov_b32_e32 v3, v5
	v_addc_co_u32_e32 v36, vcc, v41, v2, vcc
	v_lshlrev_b64 v[1:2], 4, v[6:7]
	v_mad_u64_u32 v[5:6], s[6:7], s9, v8, v[3:4]
	v_add_co_u32_e32 v37, vcc, v27, v1
	v_addc_co_u32_e32 v38, vcc, v41, v2, vcc
	v_lshlrev_b64 v[39:40], 4, v[4:5]
	global_load_dwordx4 v[1:4], v[21:22], off
	global_load_dwordx4 v[5:8], v[23:24], off
	;; [unrolled: 1-line block ×5, first 2 shown]
	v_add_co_u32_e32 v21, vcc, v27, v39
	v_addc_co_u32_e32 v22, vcc, v41, v40, vcc
	global_load_dwordx4 v[21:24], v[21:22], off
	v_mul_u32_u24_e32 v25, 0x540, v33
	v_add3_u32 v25, 0, v25, v34
	s_waitcnt vmcnt(5)
	ds_write_b128 v25, v[1:4]
	s_waitcnt vmcnt(4)
	ds_write_b128 v25, v[5:8] offset:224
	s_waitcnt vmcnt(3)
	ds_write_b128 v25, v[9:12] offset:448
	;; [unrolled: 2-line block ×5, first 2 shown]
.LBB0_14:
	s_or_b64 exec, exec, s[4:5]
	s_movk_i32 s4, 0x124a
	v_mul_u32_u24_sdwa v1, v0, s4 dst_sel:DWORD dst_unused:UNUSED_PAD src0_sel:WORD_0 src1_sel:DWORD
	s_add_u32 s4, 0, 0xaaaa0000
	s_addc_u32 s5, 0, 42
	s_add_i32 s5, s5, 0xaaaaa80
	s_mul_hi_u32 s17, s4, 0xffffffe8
	s_sub_i32 s17, s17, s4
	s_mul_i32 s18, s5, 0xffffffe8
	s_mul_i32 s6, s4, 0xffffffe8
	s_add_i32 s17, s17, s18
	s_mul_hi_u32 s7, s5, s6
	s_mul_i32 s16, s5, s6
	s_mul_i32 s19, s4, s17
	s_mul_hi_u32 s6, s4, s6
	s_mul_hi_u32 s18, s4, s17
	s_add_u32 s6, s6, s19
	s_addc_u32 s18, 0, s18
	s_add_u32 s6, s6, s16
	s_mul_hi_u32 s19, s5, s17
	s_addc_u32 s6, s18, s7
	v_lshrrev_b32_e32 v5, 16, v1
	s_addc_u32 s7, s19, 0
	s_mul_i32 s16, s5, s17
	v_mov_b32_e32 v1, s33
	v_add_co_u32_e32 v6, vcc, s36, v5
	s_add_u32 s6, s6, s16
	v_addc_co_u32_e32 v7, vcc, 0, v1, vcc
	v_mov_b32_e32 v1, s6
	s_addc_u32 s7, 0, s7
	v_add_co_u32_e32 v3, vcc, s4, v1
	s_cmp_lg_u64 vcc, 0
	s_addc_u32 s6, s5, s7
	v_mad_u64_u32 v[1:2], s[4:5], v6, s6, 0
	v_mul_hi_u32 v4, v6, v3
	s_waitcnt lgkmcnt(0)
	s_barrier
	v_add_co_u32_e32 v8, vcc, v4, v1
	v_addc_co_u32_e32 v9, vcc, 0, v2, vcc
	v_mad_u64_u32 v[1:2], s[4:5], v7, v3, 0
	v_mad_u64_u32 v[3:4], s[4:5], v7, s6, 0
	v_add_co_u32_e32 v1, vcc, v8, v1
	v_addc_co_u32_e32 v1, vcc, v9, v2, vcc
	v_addc_co_u32_e32 v2, vcc, 0, v4, vcc
	v_add_co_u32_e32 v1, vcc, v1, v3
	v_addc_co_u32_e32 v3, vcc, 0, v2, vcc
	v_mad_u64_u32 v[1:2], s[4:5], v1, 24, 0
	v_mad_u64_u32 v[2:3], s[4:5], v3, 24, v[2:3]
	v_sub_co_u32_e32 v1, vcc, v6, v1
	v_subb_co_u32_e32 v2, vcc, v7, v2, vcc
	v_subrev_co_u32_e32 v3, vcc, 24, v1
	v_subbrev_co_u32_e32 v4, vcc, 0, v2, vcc
	v_cmp_lt_u32_e32 vcc, 23, v3
	v_cndmask_b32_e64 v6, 0, -1, vcc
	v_cmp_eq_u32_e32 vcc, 0, v4
	v_cndmask_b32_e32 v4, -1, v6, vcc
	v_subrev_u32_e32 v6, 24, v3
	v_cmp_ne_u32_e32 vcc, 0, v4
	v_cndmask_b32_e32 v3, v3, v6, vcc
	v_cmp_lt_u32_e32 vcc, 23, v1
	v_cndmask_b32_e64 v4, 0, -1, vcc
	v_cmp_eq_u32_e32 vcc, 0, v2
	v_cndmask_b32_e32 v2, -1, v4, vcc
	v_cmp_ne_u32_e32 vcc, 0, v2
	v_cndmask_b32_e32 v1, v1, v3, vcc
	v_mul_lo_u16_e32 v2, 14, v5
	v_mul_u32_u24_e32 v1, 0x54, v1
	v_sub_u16_e32 v38, v0, v2
	v_lshlrev_b32_e32 v37, 4, v1
	v_lshlrev_b32_e32 v0, 4, v38
	v_add3_u32 v36, 0, v37, v0
	v_add_u32_e32 v39, 0, v0
	v_add_u32_e32 v35, v39, v37
	ds_read_b128 v[0:3], v36
	ds_read_b128 v[4:7], v35 offset:192
	ds_read_b128 v[8:11], v35 offset:384
	;; [unrolled: 1-line block ×6, first 2 shown]
	v_cmp_gt_u16_e32 vcc, 12, v38
	s_waitcnt lgkmcnt(0)
	s_barrier
	s_and_saveexec_b64 s[4:5], vcc
	s_cbranch_execz .LBB0_16
; %bb.15:
	v_add_f64 v[42:43], v[4:5], v[24:25]
	v_add_f64 v[44:45], v[10:11], v[22:23]
	;; [unrolled: 1-line block ×3, first 2 shown]
	v_add_f64 v[4:5], v[4:5], -v[24:25]
	v_add_f64 v[24:25], v[16:17], -v[12:13]
	v_add_f64 v[48:49], v[14:15], v[18:19]
	v_add_f64 v[8:9], v[8:9], -v[20:21]
	v_add_f64 v[14:15], v[18:19], -v[14:15]
	;; [unrolled: 1-line block ×3, first 2 shown]
	v_add_f64 v[40:41], v[6:7], v[26:27]
	v_add_f64 v[6:7], v[6:7], -v[26:27]
	s_mov_b32 s6, 0xe976ee23
	v_add_f64 v[22:23], v[4:5], -v[24:25]
	s_mov_b32 s7, 0x3fe11646
	v_add_f64 v[18:19], v[24:25], v[8:9]
	v_add_f64 v[24:25], v[24:25], -v[8:9]
	v_add_f64 v[26:27], v[14:15], v[10:11]
	v_add_f64 v[50:51], v[14:15], -v[10:11]
	v_add_f64 v[8:9], v[8:9], -v[4:5]
	;; [unrolled: 1-line block ×3, first 2 shown]
	v_add_f64 v[12:13], v[12:13], v[16:17]
	v_add_f64 v[16:17], v[44:45], v[40:41]
	;; [unrolled: 1-line block ×3, first 2 shown]
	v_mul_f64 v[24:25], v[24:25], s[6:7]
	v_add_f64 v[18:19], v[26:27], v[6:7]
	v_mul_f64 v[26:27], v[50:51], s[6:7]
	s_mov_b32 s6, 0x429ad128
	s_mov_b32 s7, 0xbfebfeb5
	v_mul_f64 v[50:51], v[8:9], s[6:7]
	v_add_f64 v[20:21], v[46:47], v[42:43]
	s_mov_b32 s17, 0xbfd5d0dc
	s_mov_b32 s16, 0xb247c609
	v_add_f64 v[6:7], v[10:11], -v[6:7]
	v_fma_f64 v[10:11], v[22:23], s[16:17], v[24:25]
	v_fma_f64 v[52:53], v[14:15], s[16:17], v[26:27]
	s_mov_b32 s17, 0x3fd5d0dc
	v_add_f64 v[54:55], v[40:41], -v[48:49]
	v_fma_f64 v[22:23], v[22:23], s[16:17], -v[50:51]
	v_add_f64 v[50:51], v[42:43], -v[12:13]
	v_add_f64 v[16:17], v[48:49], v[16:17]
	v_add_f64 v[20:21], v[12:13], v[20:21]
	v_add_f64 v[48:49], v[48:49], -v[44:45]
	v_add_f64 v[12:13], v[12:13], -v[46:47]
	s_mov_b32 s18, 0x37e14327
	s_mov_b32 s19, 0x3fe948f6
	v_add_f64 v[40:41], v[44:45], -v[40:41]
	v_mul_f64 v[44:45], v[54:55], s[18:19]
	v_mul_f64 v[50:51], v[50:51], s[18:19]
	s_mov_b32 s18, 0x36b3c0b5
	v_add_f64 v[42:43], v[46:47], -v[42:43]
	s_mov_b32 s19, 0x3fac98ee
	v_add_f64 v[2:3], v[2:3], v[16:17]
	v_add_f64 v[0:1], v[0:1], v[20:21]
	v_mul_f64 v[54:55], v[48:49], s[18:19]
	v_mul_f64 v[46:47], v[6:7], s[6:7]
	;; [unrolled: 1-line block ×3, first 2 shown]
	s_mov_b32 s21, 0xbfe77f67
	s_mov_b32 s20, 0x5476071b
	s_mov_b32 s22, 0xaaaaaaaa
	v_fma_f64 v[48:49], v[48:49], s[18:19], v[44:45]
	s_mov_b32 s23, 0xbff2aaaa
	v_fma_f64 v[44:45], v[40:41], s[20:21], -v[44:45]
	v_fma_f64 v[58:59], v[42:43], s[20:21], -v[50:51]
	s_mov_b32 s21, 0x3fe77f67
	v_fma_f64 v[16:17], v[16:17], s[22:23], v[2:3]
	v_fma_f64 v[40:41], v[40:41], s[20:21], -v[54:55]
	v_fma_f64 v[8:9], v[8:9], s[6:7], -v[24:25]
	v_fma_f64 v[20:21], v[20:21], s[22:23], v[0:1]
	v_fma_f64 v[12:13], v[12:13], s[18:19], v[50:51]
	v_fma_f64 v[14:15], v[14:15], s[16:17], -v[46:47]
	v_fma_f64 v[42:43], v[42:43], s[20:21], -v[56:57]
	;; [unrolled: 1-line block ×3, first 2 shown]
	s_mov_b32 s6, 0x37c3f68c
	s_mov_b32 s7, 0xbfdc38aa
	v_add_f64 v[24:25], v[48:49], v[16:17]
	v_add_f64 v[26:27], v[44:45], v[16:17]
	v_add_f64 v[16:17], v[40:41], v[16:17]
	v_fma_f64 v[8:9], v[4:5], s[6:7], v[8:9]
	v_fma_f64 v[44:45], v[4:5], s[6:7], v[10:11]
	v_add_f64 v[12:13], v[12:13], v[20:21]
	v_fma_f64 v[48:49], v[18:19], s[6:7], v[52:53]
	v_fma_f64 v[46:47], v[4:5], s[6:7], v[22:23]
	v_add_f64 v[50:51], v[58:59], v[20:21]
	v_fma_f64 v[52:53], v[18:19], s[6:7], v[14:15]
	v_add_f64 v[40:41], v[42:43], v[20:21]
	v_fma_f64 v[42:43], v[18:19], s[6:7], v[6:7]
	v_add_f64 v[6:7], v[16:17], -v[8:9]
	v_add_f64 v[10:11], v[8:9], v[16:17]
	v_add_f64 v[18:19], v[24:25], -v[44:45]
	v_add_f64 v[16:17], v[12:13], v[48:49]
	;; [unrolled: 2-line block ×3, first 2 shown]
	v_add_f64 v[14:15], v[44:45], v[24:25]
	v_add_f64 v[8:9], v[40:41], -v[42:43]
	v_add_f64 v[4:5], v[40:41], v[42:43]
	v_add_f64 v[26:27], v[46:47], v[26:27]
	v_add_f64 v[24:25], v[50:51], -v[52:53]
	v_add_f64 v[12:13], v[12:13], -v[48:49]
	v_mul_u32_u24_e32 v40, 0x60, v38
	v_add3_u32 v39, v39, v40, v37
	ds_write_b128 v39, v[0:3]
	ds_write_b128 v39, v[16:19] offset:16
	ds_write_b128 v39, v[20:23] offset:32
	;; [unrolled: 1-line block ×6, first 2 shown]
.LBB0_16:
	s_or_b64 exec, exec, s[4:5]
	v_add_u32_e32 v0, -7, v38
	v_cmp_gt_u16_e32 vcc, 7, v38
	v_cndmask_b32_e32 v47, v0, v38, vcc
	v_mov_b32_e32 v48, 0
	v_lshlrev_b64 v[0:1], 4, v[47:48]
	v_mov_b32_e32 v2, s15
	v_add_co_u32_e32 v8, vcc, s14, v0
	v_add_u16_e32 v0, 14, v38
	v_mov_b32_e32 v10, 37
	v_addc_co_u32_e32 v9, vcc, v2, v1, vcc
	v_mul_lo_u16_sdwa v1, v0, v10 dst_sel:DWORD dst_unused:UNUSED_PAD src0_sel:BYTE_0 src1_sel:DWORD
	v_sub_u16_sdwa v2, v0, v1 dst_sel:DWORD dst_unused:UNUSED_PAD src0_sel:DWORD src1_sel:BYTE_1
	v_lshrrev_b16_e32 v2, 1, v2
	v_and_b32_e32 v2, 0x7f, v2
	v_add_u16_sdwa v1, v2, v1 dst_sel:DWORD dst_unused:UNUSED_PAD src0_sel:DWORD src1_sel:BYTE_1
	v_lshrrev_b16_e32 v54, 2, v1
	v_mul_lo_u16_e32 v1, 7, v54
	v_sub_u16_e32 v0, v0, v1
	v_mov_b32_e32 v11, 4
	s_waitcnt lgkmcnt(0)
	s_barrier
	v_lshlrev_b32_sdwa v55, v11, v0 dst_sel:DWORD dst_unused:UNUSED_PAD src0_sel:DWORD src1_sel:BYTE_0
	global_load_dwordx4 v[0:3], v[8:9], off
	global_load_dwordx4 v[4:7], v55, s[14:15]
	v_add_u16_e32 v8, 28, v38
	v_mul_lo_u16_sdwa v9, v8, v10 dst_sel:DWORD dst_unused:UNUSED_PAD src0_sel:BYTE_0 src1_sel:DWORD
	v_sub_u16_sdwa v10, v8, v9 dst_sel:DWORD dst_unused:UNUSED_PAD src0_sel:DWORD src1_sel:BYTE_1
	v_lshrrev_b16_e32 v10, 1, v10
	v_and_b32_e32 v10, 0x7f, v10
	v_add_u16_sdwa v9, v10, v9 dst_sel:DWORD dst_unused:UNUSED_PAD src0_sel:DWORD src1_sel:BYTE_1
	v_lshrrev_b16_e32 v56, 2, v9
	v_mul_lo_u16_e32 v9, 7, v56
	v_sub_u16_e32 v8, v8, v9
	v_lshlrev_b32_sdwa v57, v11, v8 dst_sel:DWORD dst_unused:UNUSED_PAD src0_sel:DWORD src1_sel:BYTE_0
	global_load_dwordx4 v[8:11], v57, s[14:15]
	ds_read_b128 v[12:15], v36
	ds_read_b128 v[16:19], v35 offset:224
	ds_read_b128 v[20:23], v35 offset:672
	;; [unrolled: 1-line block ×5, first 2 shown]
	v_mov_b32_e32 v48, 0xe0
	v_mul_u32_u24_e32 v49, 5, v38
	v_cmp_lt_u16_e32 vcc, 6, v38
	v_cndmask_b32_e32 v38, 0, v48, vcc
	v_lshlrev_b32_e32 v58, 4, v49
	v_add_u32_e32 v38, 0, v38
	v_lshlrev_b32_e32 v47, 4, v47
	v_add3_u32 v47, v38, v47, v37
	s_movk_i32 s4, 0xe0
	s_waitcnt vmcnt(0) lgkmcnt(0)
	s_barrier
	s_mov_b32 s7, 0x3febb67a
	v_mul_f64 v[48:49], v[22:23], v[2:3]
	v_mul_f64 v[2:3], v[20:21], v[2:3]
	;; [unrolled: 1-line block ×4, first 2 shown]
	v_fma_f64 v[20:21], v[20:21], v[0:1], v[48:49]
	v_fma_f64 v[2:3], v[22:23], v[0:1], -v[2:3]
	v_fma_f64 v[22:23], v[39:40], v[4:5], v[50:51]
	v_fma_f64 v[6:7], v[41:42], v[4:5], -v[6:7]
	v_mul_f64 v[52:53], v[45:46], v[10:11]
	v_mul_f64 v[10:11], v[43:44], v[10:11]
	v_mad_u32_u24 v40, v54, s4, 0
	v_mad_u32_u24 v41, v56, s4, 0
	v_add_f64 v[0:1], v[12:13], -v[20:21]
	v_add_f64 v[2:3], v[14:15], -v[2:3]
	;; [unrolled: 1-line block ×4, first 2 shown]
	v_fma_f64 v[38:39], v[43:44], v[8:9], v[52:53]
	v_fma_f64 v[10:11], v[45:46], v[8:9], -v[10:11]
	s_mov_b32 s4, 0xe8584caa
	s_mov_b32 s5, 0xbfebb67a
	v_fma_f64 v[12:13], v[12:13], 2.0, -v[0:1]
	v_fma_f64 v[14:15], v[14:15], 2.0, -v[2:3]
	;; [unrolled: 1-line block ×4, first 2 shown]
	v_add_f64 v[8:9], v[24:25], -v[38:39]
	v_add_f64 v[10:11], v[26:27], -v[10:11]
	s_mov_b32 s6, s4
	v_fma_f64 v[20:21], v[24:25], 2.0, -v[8:9]
	v_fma_f64 v[22:23], v[26:27], 2.0, -v[10:11]
	v_add3_u32 v24, v40, v55, v37
	v_add3_u32 v25, v41, v57, v37
	ds_write_b128 v47, v[0:3] offset:112
	ds_write_b128 v47, v[12:15]
	ds_write_b128 v24, v[4:7] offset:112
	ds_write_b128 v24, v[16:19]
	ds_write_b128 v25, v[20:23]
	ds_write_b128 v25, v[8:11] offset:112
	s_waitcnt lgkmcnt(0)
	s_barrier
	global_load_dwordx4 v[0:3], v58, s[14:15] offset:128
	global_load_dwordx4 v[4:7], v58, s[14:15] offset:112
	;; [unrolled: 1-line block ×5, first 2 shown]
	ds_read_b128 v[20:23], v35 offset:448
	ds_read_b128 v[24:27], v36
	ds_read_b128 v[36:39], v35 offset:224
	ds_read_b128 v[40:43], v35 offset:672
	;; [unrolled: 1-line block ×4, first 2 shown]
	s_waitcnt vmcnt(0) lgkmcnt(0)
	s_barrier
	v_mul_f64 v[52:53], v[22:23], v[2:3]
	v_mul_f64 v[2:3], v[20:21], v[2:3]
	;; [unrolled: 1-line block ×7, first 2 shown]
	v_fma_f64 v[20:21], v[20:21], v[0:1], v[52:53]
	v_fma_f64 v[0:1], v[22:23], v[0:1], -v[2:3]
	v_mul_f64 v[2:3], v[36:37], v[6:7]
	v_mul_f64 v[6:7], v[42:43], v[10:11]
	;; [unrolled: 1-line block ×3, first 2 shown]
	v_fma_f64 v[18:19], v[42:43], v[8:9], -v[56:57]
	v_fma_f64 v[22:23], v[50:51], v[16:17], -v[60:61]
	v_fma_f64 v[42:43], v[44:45], v[12:13], v[58:59]
	v_fma_f64 v[12:13], v[46:47], v[12:13], -v[14:15]
	v_fma_f64 v[14:15], v[36:37], v[4:5], v[54:55]
	;; [unrolled: 2-line block ×3, first 2 shown]
	v_fma_f64 v[8:9], v[48:49], v[16:17], v[10:11]
	v_add_f64 v[38:39], v[26:27], v[0:1]
	v_add_f64 v[4:5], v[18:19], v[22:23]
	;; [unrolled: 1-line block ×3, first 2 shown]
	v_add_f64 v[36:37], v[0:1], -v[12:13]
	v_add_f64 v[0:1], v[0:1], v[12:13]
	v_add_f64 v[46:47], v[18:19], -v[22:23]
	v_add_f64 v[10:11], v[24:25], v[20:21]
	v_add_f64 v[40:41], v[6:7], v[8:9]
	v_add_f64 v[44:45], v[6:7], -v[8:9]
	v_fma_f64 v[4:5], v[4:5], -0.5, v[2:3]
	v_add_f64 v[6:7], v[14:15], v[6:7]
	v_add_f64 v[2:3], v[2:3], v[18:19]
	v_add_f64 v[20:21], v[20:21], -v[42:43]
	v_fma_f64 v[16:17], v[16:17], -0.5, v[24:25]
	v_fma_f64 v[0:1], v[0:1], -0.5, v[26:27]
	;; [unrolled: 1-line block ×3, first 2 shown]
	v_add_f64 v[10:11], v[10:11], v[42:43]
	v_fma_f64 v[18:19], v[44:45], s[6:7], v[4:5]
	v_fma_f64 v[4:5], v[44:45], s[4:5], v[4:5]
	v_add_f64 v[6:7], v[6:7], v[8:9]
	v_add_f64 v[8:9], v[2:3], v[22:23]
	;; [unrolled: 1-line block ×3, first 2 shown]
	v_fma_f64 v[26:27], v[36:37], s[4:5], v[16:17]
	v_fma_f64 v[2:3], v[46:47], s[4:5], v[14:15]
	;; [unrolled: 1-line block ×3, first 2 shown]
	v_mul_f64 v[22:23], v[18:19], s[4:5]
	v_mul_f64 v[18:19], v[18:19], 0.5
	v_mul_f64 v[24:25], v[4:5], s[4:5]
	v_mul_f64 v[4:5], v[4:5], -0.5
	v_fma_f64 v[36:37], v[36:37], s[6:7], v[16:17]
	v_fma_f64 v[38:39], v[20:21], s[6:7], v[0:1]
	;; [unrolled: 1-line block ×3, first 2 shown]
	v_add_f64 v[0:1], v[10:11], v[6:7]
	v_fma_f64 v[16:17], v[2:3], 0.5, v[22:23]
	v_fma_f64 v[18:19], v[2:3], s[6:7], v[18:19]
	v_fma_f64 v[20:21], v[14:15], -0.5, v[24:25]
	v_fma_f64 v[22:23], v[14:15], s[6:7], v[4:5]
	v_add_f64 v[2:3], v[12:13], v[8:9]
	v_add_f64 v[4:5], v[10:11], -v[6:7]
	v_add_f64 v[6:7], v[12:13], -v[8:9]
	v_add_f64 v[8:9], v[26:27], v[16:17]
	v_add_f64 v[10:11], v[38:39], v[18:19]
	;; [unrolled: 1-line block ×4, first 2 shown]
	v_add_f64 v[16:17], v[26:27], -v[16:17]
	v_add_f64 v[18:19], v[38:39], -v[18:19]
	;; [unrolled: 1-line block ×4, first 2 shown]
	ds_write_b128 v35, v[0:3]
	ds_write_b128 v35, v[4:7] offset:672
	ds_write_b128 v35, v[8:11] offset:224
	;; [unrolled: 1-line block ×5, first 2 shown]
	s_waitcnt lgkmcnt(0)
	s_barrier
	s_and_saveexec_b64 s[4:5], s[0:1]
	s_cbranch_execz .LBB0_18
; %bb.17:
	v_mad_u64_u32 v[4:5], s[0:1], s10, v33, 0
	v_mad_u64_u32 v[6:7], s[0:1], s8, v28, 0
	v_mov_b32_e32 v0, v5
	v_mad_u64_u32 v[0:1], s[0:1], s11, v33, v[0:1]
	v_mov_b32_e32 v1, v7
	;; [unrolled: 2-line block ×3, first 2 shown]
	s_lshl_b64 s[0:1], s[2:3], 4
	v_mul_u32_u24_e32 v0, 0x540, v33
	s_add_u32 s0, s12, s0
	v_lshlrev_b64 v[4:5], 4, v[4:5]
	v_add3_u32 v14, 0, v0, v34
	s_addc_u32 s1, s13, s1
	v_mov_b32_e32 v7, v1
	ds_read_b128 v[0:3], v14
	v_mov_b32_e32 v8, s1
	v_add_co_u32_e32 v15, vcc, s0, v4
	v_addc_co_u32_e32 v16, vcc, v8, v5, vcc
	v_lshlrev_b64 v[4:5], 4, v[6:7]
	v_mad_u64_u32 v[8:9], s[0:1], s8, v32, 0
	v_add_co_u32_e32 v10, vcc, v15, v4
	v_addc_co_u32_e32 v11, vcc, v16, v5, vcc
	ds_read_b128 v[4:7], v14 offset:224
	s_waitcnt lgkmcnt(1)
	global_store_dwordx4 v[10:11], v[0:3], off
	v_mad_u64_u32 v[10:11], s[0:1], s8, v31, 0
	v_mov_b32_e32 v0, v9
	v_mad_u64_u32 v[0:1], s[0:1], s9, v32, v[0:1]
	v_mov_b32_e32 v2, v11
	;; [unrolled: 2-line block ×3, first 2 shown]
	v_lshlrev_b64 v[0:1], 4, v[8:9]
	v_mov_b32_e32 v11, v2
	v_add_co_u32_e32 v0, vcc, v15, v0
	v_addc_co_u32_e32 v1, vcc, v16, v1, vcc
	s_waitcnt lgkmcnt(0)
	global_store_dwordx4 v[0:1], v[4:7], off
	ds_read_b128 v[0:3], v14 offset:448
	v_lshlrev_b64 v[4:5], 4, v[10:11]
	v_mad_u64_u32 v[8:9], s[0:1], s8, v30, 0
	v_add_co_u32_e32 v10, vcc, v15, v4
	v_addc_co_u32_e32 v11, vcc, v16, v5, vcc
	ds_read_b128 v[4:7], v14 offset:672
	s_waitcnt lgkmcnt(1)
	global_store_dwordx4 v[10:11], v[0:3], off
	s_nop 0
	v_mov_b32_e32 v0, v9
	v_mad_u64_u32 v[0:1], s[0:1], s9, v30, v[0:1]
	v_mad_u64_u32 v[1:2], s[0:1], s8, v29, 0
	v_mov_b32_e32 v9, v0
	v_lshlrev_b64 v[8:9], 4, v[8:9]
	v_mov_b32_e32 v0, v2
	v_add_co_u32_e32 v8, vcc, v15, v8
	v_mad_u64_u32 v[2:3], s[0:1], s9, v29, v[0:1]
	v_addc_co_u32_e32 v9, vcc, v16, v9, vcc
	s_waitcnt lgkmcnt(0)
	global_store_dwordx4 v[8:9], v[4:7], off
	v_lshlrev_b64 v[0:1], 4, v[1:2]
	v_add_u32_e32 v5, 0x46, v28
	v_mad_u64_u32 v[8:9], s[0:1], s8, v5, 0
	v_add_co_u32_e32 v10, vcc, v15, v0
	v_mov_b32_e32 v4, v9
	v_addc_co_u32_e32 v11, vcc, v16, v1, vcc
	ds_read_b128 v[0:3], v14 offset:896
	v_mad_u64_u32 v[12:13], s[0:1], s9, v5, v[4:5]
	ds_read_b128 v[4:7], v14 offset:1120
	v_mov_b32_e32 v9, v12
	s_waitcnt lgkmcnt(1)
	global_store_dwordx4 v[10:11], v[0:3], off
	s_nop 0
	v_lshlrev_b64 v[0:1], 4, v[8:9]
	v_add_co_u32_e32 v0, vcc, v15, v0
	v_addc_co_u32_e32 v1, vcc, v16, v1, vcc
	s_waitcnt lgkmcnt(0)
	global_store_dwordx4 v[0:1], v[4:7], off
.LBB0_18:
	s_endpgm
	.section	.rodata,"a",@progbits
	.p2align	6, 0x0
	.amdhsa_kernel fft_rtc_back_len84_factors_7_2_6_wgs_336_tpt_14_dp_ip_CI_sbcc
		.amdhsa_group_segment_fixed_size 0
		.amdhsa_private_segment_fixed_size 0
		.amdhsa_kernarg_size 96
		.amdhsa_user_sgpr_count 6
		.amdhsa_user_sgpr_private_segment_buffer 1
		.amdhsa_user_sgpr_dispatch_ptr 0
		.amdhsa_user_sgpr_queue_ptr 0
		.amdhsa_user_sgpr_kernarg_segment_ptr 1
		.amdhsa_user_sgpr_dispatch_id 0
		.amdhsa_user_sgpr_flat_scratch_init 0
		.amdhsa_user_sgpr_private_segment_size 0
		.amdhsa_uses_dynamic_stack 0
		.amdhsa_system_sgpr_private_segment_wavefront_offset 0
		.amdhsa_system_sgpr_workgroup_id_x 1
		.amdhsa_system_sgpr_workgroup_id_y 0
		.amdhsa_system_sgpr_workgroup_id_z 0
		.amdhsa_system_sgpr_workgroup_info 0
		.amdhsa_system_vgpr_workitem_id 0
		.amdhsa_next_free_vgpr 62
		.amdhsa_next_free_sgpr 43
		.amdhsa_reserve_vcc 1
		.amdhsa_reserve_flat_scratch 0
		.amdhsa_float_round_mode_32 0
		.amdhsa_float_round_mode_16_64 0
		.amdhsa_float_denorm_mode_32 3
		.amdhsa_float_denorm_mode_16_64 3
		.amdhsa_dx10_clamp 1
		.amdhsa_ieee_mode 1
		.amdhsa_fp16_overflow 0
		.amdhsa_exception_fp_ieee_invalid_op 0
		.amdhsa_exception_fp_denorm_src 0
		.amdhsa_exception_fp_ieee_div_zero 0
		.amdhsa_exception_fp_ieee_overflow 0
		.amdhsa_exception_fp_ieee_underflow 0
		.amdhsa_exception_fp_ieee_inexact 0
		.amdhsa_exception_int_div_zero 0
	.end_amdhsa_kernel
	.text
.Lfunc_end0:
	.size	fft_rtc_back_len84_factors_7_2_6_wgs_336_tpt_14_dp_ip_CI_sbcc, .Lfunc_end0-fft_rtc_back_len84_factors_7_2_6_wgs_336_tpt_14_dp_ip_CI_sbcc
                                        ; -- End function
	.section	.AMDGPU.csdata,"",@progbits
; Kernel info:
; codeLenInByte = 5084
; NumSgprs: 47
; NumVgprs: 62
; ScratchSize: 0
; MemoryBound: 0
; FloatMode: 240
; IeeeMode: 1
; LDSByteSize: 0 bytes/workgroup (compile time only)
; SGPRBlocks: 5
; VGPRBlocks: 15
; NumSGPRsForWavesPerEU: 47
; NumVGPRsForWavesPerEU: 62
; Occupancy: 4
; WaveLimiterHint : 1
; COMPUTE_PGM_RSRC2:SCRATCH_EN: 0
; COMPUTE_PGM_RSRC2:USER_SGPR: 6
; COMPUTE_PGM_RSRC2:TRAP_HANDLER: 0
; COMPUTE_PGM_RSRC2:TGID_X_EN: 1
; COMPUTE_PGM_RSRC2:TGID_Y_EN: 0
; COMPUTE_PGM_RSRC2:TGID_Z_EN: 0
; COMPUTE_PGM_RSRC2:TIDIG_COMP_CNT: 0
	.type	__hip_cuid_5aaa4fec6e306a05,@object ; @__hip_cuid_5aaa4fec6e306a05
	.section	.bss,"aw",@nobits
	.globl	__hip_cuid_5aaa4fec6e306a05
__hip_cuid_5aaa4fec6e306a05:
	.byte	0                               ; 0x0
	.size	__hip_cuid_5aaa4fec6e306a05, 1

	.ident	"AMD clang version 19.0.0git (https://github.com/RadeonOpenCompute/llvm-project roc-6.4.0 25133 c7fe45cf4b819c5991fe208aaa96edf142730f1d)"
	.section	".note.GNU-stack","",@progbits
	.addrsig
	.addrsig_sym __hip_cuid_5aaa4fec6e306a05
	.amdgpu_metadata
---
amdhsa.kernels:
  - .args:
      - .actual_access:  read_only
        .address_space:  global
        .offset:         0
        .size:           8
        .value_kind:     global_buffer
      - .address_space:  global
        .offset:         8
        .size:           8
        .value_kind:     global_buffer
      - .offset:         16
        .size:           8
        .value_kind:     by_value
      - .actual_access:  read_only
        .address_space:  global
        .offset:         24
        .size:           8
        .value_kind:     global_buffer
      - .actual_access:  read_only
        .address_space:  global
        .offset:         32
        .size:           8
        .value_kind:     global_buffer
      - .offset:         40
        .size:           8
        .value_kind:     by_value
      - .actual_access:  read_only
        .address_space:  global
        .offset:         48
        .size:           8
        .value_kind:     global_buffer
      - .actual_access:  read_only
        .address_space:  global
        .offset:         56
        .size:           8
        .value_kind:     global_buffer
      - .offset:         64
        .size:           4
        .value_kind:     by_value
      - .actual_access:  read_only
        .address_space:  global
        .offset:         72
        .size:           8
        .value_kind:     global_buffer
      - .actual_access:  read_only
        .address_space:  global
        .offset:         80
        .size:           8
        .value_kind:     global_buffer
      - .address_space:  global
        .offset:         88
        .size:           8
        .value_kind:     global_buffer
    .group_segment_fixed_size: 0
    .kernarg_segment_align: 8
    .kernarg_segment_size: 96
    .language:       OpenCL C
    .language_version:
      - 2
      - 0
    .max_flat_workgroup_size: 336
    .name:           fft_rtc_back_len84_factors_7_2_6_wgs_336_tpt_14_dp_ip_CI_sbcc
    .private_segment_fixed_size: 0
    .sgpr_count:     47
    .sgpr_spill_count: 0
    .symbol:         fft_rtc_back_len84_factors_7_2_6_wgs_336_tpt_14_dp_ip_CI_sbcc.kd
    .uniform_work_group_size: 1
    .uses_dynamic_stack: false
    .vgpr_count:     62
    .vgpr_spill_count: 0
    .wavefront_size: 64
amdhsa.target:   amdgcn-amd-amdhsa--gfx906
amdhsa.version:
  - 1
  - 2
...

	.end_amdgpu_metadata
